;; amdgpu-corpus repo=ROCm/rocFFT kind=compiled arch=gfx950 opt=O3
	.text
	.amdgcn_target "amdgcn-amd-amdhsa--gfx950"
	.amdhsa_code_object_version 6
	.protected	fft_rtc_back_len100_factors_5_5_4_wgs_100_tpt_25_half_op_CI_CI_sbrc_z_xy_diag_dirReg ; -- Begin function fft_rtc_back_len100_factors_5_5_4_wgs_100_tpt_25_half_op_CI_CI_sbrc_z_xy_diag_dirReg
	.globl	fft_rtc_back_len100_factors_5_5_4_wgs_100_tpt_25_half_op_CI_CI_sbrc_z_xy_diag_dirReg
	.p2align	8
	.type	fft_rtc_back_len100_factors_5_5_4_wgs_100_tpt_25_half_op_CI_CI_sbrc_z_xy_diag_dirReg,@function
fft_rtc_back_len100_factors_5_5_4_wgs_100_tpt_25_half_op_CI_CI_sbrc_z_xy_diag_dirReg: ; @fft_rtc_back_len100_factors_5_5_4_wgs_100_tpt_25_half_op_CI_CI_sbrc_z_xy_diag_dirReg
; %bb.0:
	s_load_dwordx8 s[4:11], s[0:1], 0x8
	v_mul_u32_u24_e32 v2, 0x290, v0
	v_lshrrev_b32_e32 v12, 16, v2
	v_mul_lo_u16_e32 v2, 0x64, v12
	s_waitcnt lgkmcnt(0)
	s_load_dwordx4 s[12:15], s[6:7], 0x8
	s_nop 0
	s_load_dwordx2 s[6:7], s[0:1], 0x58
	s_waitcnt lgkmcnt(0)
	s_add_i32 s3, s12, -1
	s_lshr_b32 s3, s3, 2
	s_add_i32 s3, s3, 1
	s_mul_i32 s17, s3, s14
	v_cvt_f32_u32_e32 v1, s17
	s_load_dwordx4 s[12:15], s[8:9], 0x0
	s_load_dword s18, s[8:9], 0x10
	s_waitcnt lgkmcnt(0)
	s_sub_i32 s15, 0, s17
	s_mov_b32 s3, 0
	v_rcp_iflag_f32_e32 v1, v1
	s_nop 0
	v_mul_f32_e32 v1, 0x4f7ffffe, v1
	v_cvt_u32_f32_e32 v1, v1
	s_nop 0
	v_readfirstlane_b32 s16, v1
	s_mul_i32 s15, s15, s16
	s_mul_hi_u32 s15, s16, s15
	s_add_i32 s16, s16, s15
	s_mul_hi_u32 s15, s2, s16
	s_mul_i32 s16, s15, s17
	s_sub_i32 s16, s2, s16
	s_add_i32 s19, s15, 1
	s_sub_i32 s20, s16, s17
	s_cmp_ge_u32 s16, s17
	s_cselect_b32 s15, s19, s15
	s_cselect_b32 s16, s20, s16
	s_add_i32 s19, s15, 1
	s_cmp_ge_u32 s16, s17
	s_cselect_b32 s16, s19, s15
	s_mul_i32 s15, s16, s17
	s_sub_i32 s2, s2, s15
	s_mul_hi_u32 s15, s2, 0x51eb851f
	s_lshr_b32 s15, s15, 3
	s_mul_i32 s17, s15, 25
	s_sub_i32 s2, s2, s17
	s_add_i32 s17, s15, s2
	s_lshl_b32 s15, s2, 2
	s_mul_hi_u32 s2, s17, 0x51eb851f
	s_lshr_b32 s2, s2, 5
	s_mulk_i32 s2, 0x64
	s_sub_i32 s17, s17, s2
	s_mul_i32 s19, s15, s14
	s_mul_i32 s2, s17, s18
	s_lshl_b64 s[4:5], s[4:5], 3
	s_add_i32 s2, s2, s19
	s_add_u32 s8, s8, s4
	s_addc_u32 s9, s9, s5
	s_load_dwordx2 s[8:9], s[8:9], 0x0
	v_sub_u16_e32 v1, v0, v2
	v_mad_u64_u32 v[2:3], s[18:19], s12, v1, 0
	v_mov_b32_e32 v4, v3
	s_waitcnt lgkmcnt(0)
	s_mul_i32 s9, s9, s16
	s_mul_hi_u32 s12, s8, s16
	s_add_i32 s19, s12, s9
	s_mul_i32 s18, s8, s16
	s_add_u32 s8, s10, s4
	s_addc_u32 s9, s11, s5
	v_mad_u64_u32 v[4:5], s[4:5], s13, v1, v[4:5]
	s_lshl_b64 s[4:5], s[18:19], 2
	s_add_u32 s4, s6, s4
	s_addc_u32 s5, s7, s5
	s_lshl_b64 s[2:3], s[2:3], 2
	s_add_u32 s2, s4, s2
	v_mov_b32_e32 v3, v4
	s_addc_u32 s3, s5, s3
	v_mul_lo_u32 v4, s14, v12
	v_mov_b32_e32 v5, 0
	v_lshl_add_u64 v[2:3], v[2:3], 2, s[2:3]
	v_lshl_add_u64 v[6:7], v[4:5], 2, v[2:3]
	v_add_u32_e32 v4, s14, v4
	v_lshl_add_u64 v[8:9], v[4:5], 2, v[2:3]
	v_add_u32_e32 v4, s14, v4
	;; [unrolled: 2-line block ×3, first 2 shown]
	v_lshl_add_u64 v[2:3], v[4:5], 2, v[2:3]
	global_load_dword v4, v[6:7], off
	global_load_dword v5, v[8:9], off
	;; [unrolled: 1-line block ×4, first 2 shown]
	v_lshrrev_b32_e32 v8, 2, v0
	v_and_b32_e32 v6, 3, v0
	v_lshl_add_u32 v9, v8, 4, 0
	v_lshlrev_b32_e32 v2, 2, v12
	v_lshlrev_b32_e32 v3, 4, v1
	s_movk_i32 s2, 0x50
	v_lshl_add_u32 v7, v6, 2, v9
	v_add3_u32 v2, 0, v3, v2
	v_cmp_gt_u32_e32 vcc, s2, v0
	s_load_dwordx4 s[4:7], s[10:11], 0x0
	s_load_dwordx2 s[2:3], s[10:11], 0x10
	s_movk_i32 s12, 0x3b9c
	s_load_dwordx2 s[10:11], s[8:9], 0x0
	s_movk_i32 s13, 0x38b4
	s_mov_b32 s14, 0xffff
	s_movk_i32 s18, 0x34f2
	s_waitcnt vmcnt(2)
	ds_write2_b32 v2, v4, v5 offset1:1
	s_waitcnt vmcnt(0)
	ds_write2_b32 v2, v13, v14 offset0:2 offset1:3
	s_waitcnt lgkmcnt(0)
	s_barrier
	ds_read2_b32 v[2:3], v7 offset1:80
	ds_read2_b32 v[4:5], v7 offset0:160 offset1:240
	ds_read_b32 v10, v7 offset:1280
	s_waitcnt lgkmcnt(0)
	s_barrier
	v_pk_add_f16 v16, v2, v3
	v_pk_add_f16 v11, v4, v5
	v_pk_add_f16 v12, v3, v10 neg_lo:[0,1] neg_hi:[0,1]
	v_pk_add_f16 v13, v4, v5 neg_lo:[0,1] neg_hi:[0,1]
	v_pk_add_f16 v17, v3, v10
	v_pk_add_f16 v14, v3, v4 neg_lo:[0,1] neg_hi:[0,1]
	v_pk_add_f16 v15, v10, v5 neg_lo:[0,1] neg_hi:[0,1]
	;; [unrolled: 1-line block ×4, first 2 shown]
	v_pk_fma_f16 v11, v11, 0.5, v2 op_sel_hi:[1,0,1] neg_lo:[1,0,0] neg_hi:[1,0,0]
	v_pk_mul_f16 v19, v12, s12 op_sel_hi:[1,0]
	v_pk_mul_f16 v20, v13, s13 op_sel_hi:[1,0]
	v_pk_add_f16 v4, v16, v4
	v_pk_fma_f16 v2, v17, 0.5, v2 op_sel_hi:[1,0,1] neg_lo:[1,0,0] neg_hi:[1,0,0]
	v_pk_mul_f16 v13, v13, s12 op_sel_hi:[1,0]
	v_pk_add_f16 v14, v14, v15
	v_pk_mul_f16 v12, v12, s13 op_sel_hi:[1,0]
	v_pk_add_f16 v15, v3, v18
	v_pk_add_f16 v3, v11, v19 op_sel:[0,1] op_sel_hi:[1,0] neg_lo:[0,1] neg_hi:[0,1]
	v_pk_add_f16 v11, v11, v19 op_sel:[0,1] op_sel_hi:[1,0]
	v_pk_add_f16 v4, v4, v5
	v_pk_add_f16 v5, v2, v13 op_sel:[0,1] op_sel_hi:[1,0]
	v_pk_add_f16 v13, v2, v13 op_sel:[0,1] op_sel_hi:[1,0] neg_lo:[0,1] neg_hi:[0,1]
	v_pk_add_f16 v11, v11, v20 op_sel:[0,1] op_sel_hi:[1,0]
	v_pk_add_f16 v3, v3, v20 op_sel:[0,1] op_sel_hi:[1,0] neg_lo:[0,1] neg_hi:[0,1]
	v_pk_add_f16 v2, v4, v10
	v_pk_add_f16 v4, v13, v12 op_sel:[0,1] op_sel_hi:[1,0]
	v_pk_add_f16 v5, v5, v12 op_sel:[0,1] op_sel_hi:[1,0] neg_lo:[0,1] neg_hi:[0,1]
	v_bfi_b32 v10, s14, v11, v3
	v_bfi_b32 v3, s14, v3, v11
	;; [unrolled: 1-line block ×4, first 2 shown]
	v_pk_fma_f16 v3, v14, s18, v3 op_sel_hi:[1,0,1]
	v_pk_fma_f16 v10, v14, s18, v10 op_sel_hi:[1,0,1]
	;; [unrolled: 1-line block ×4, first 2 shown]
	v_lshlrev_b32_e32 v11, 2, v6
	s_and_saveexec_b64 s[8:9], vcc
	s_cbranch_execz .LBB0_2
; %bb.1:
	v_lshlrev_b32_e32 v12, 6, v8
	v_add3_u32 v9, v9, v12, v11
	ds_write2_b32 v9, v2, v3 offset1:4
	ds_write2_b32 v9, v4, v5 offset0:8 offset1:12
	ds_write_b32 v9, v10 offset:64
.LBB0_2:
	s_or_b64 exec, exec, s[8:9]
	s_load_dwordx2 s[8:9], s[0:1], 0x60
	s_load_dwordx2 s[12:13], s[0:1], 0x0
	v_lshrrev_b32_e32 v9, 16, v2
	s_waitcnt lgkmcnt(0)
	s_barrier
	s_and_saveexec_b64 s[0:1], vcc
	s_cbranch_execz .LBB0_4
; %bb.3:
	ds_read2_b32 v[2:3], v7 offset1:80
	ds_read2_b32 v[4:5], v7 offset0:160 offset1:240
	ds_read_u16 v9, v7 offset:2
	ds_read_b32 v10, v7 offset:1280
.LBB0_4:
	s_or_b64 exec, exec, s[0:1]
	s_waitcnt lgkmcnt(0)
	s_barrier
	s_and_saveexec_b64 s[0:1], vcc
	s_cbranch_execz .LBB0_6
; %bb.5:
	v_mul_lo_u16_e32 v12, 52, v8
	v_lshrrev_b16_e32 v16, 8, v12
	v_mul_lo_u16_e32 v12, 5, v16
	v_sub_u16_e32 v17, v8, v12
	v_lshlrev_b16_e32 v12, 2, v17
	v_and_b32_e32 v12, 0xfc, v12
	v_lshlrev_b32_e32 v12, 2, v12
	global_load_dwordx4 v[12:15], v12, s[12:13]
	v_mov_b32_e32 v22, 4
	v_mad_legacy_u16 v16, v16, 25, v17
	v_lshrrev_b32_e32 v18, 16, v4
	v_lshrrev_b32_e32 v19, 16, v3
	;; [unrolled: 1-line block ×4, first 2 shown]
	v_lshlrev_b32_sdwa v16, v22, v16 dst_sel:DWORD dst_unused:UNUSED_PAD src0_sel:DWORD src1_sel:BYTE_0
	v_add3_u32 v11, 0, v16, v11
	s_movk_i32 s3, 0x3b9c
	s_mov_b32 s18, 0xbb9c
	s_mov_b32 s7, 0xb8b4
	s_movk_i32 s19, 0x38b4
	s_movk_i32 s14, 0x34f2
	s_waitcnt vmcnt(0)
	v_mul_f16_sdwa v16, v4, v13 dst_sel:DWORD dst_unused:UNUSED_PAD src0_sel:DWORD src1_sel:WORD_1
	v_mul_f16_sdwa v17, v3, v12 dst_sel:DWORD dst_unused:UNUSED_PAD src0_sel:DWORD src1_sel:WORD_1
	;; [unrolled: 1-line block ×8, first 2 shown]
	v_fma_f16 v16, v18, v13, -v16
	v_fma_f16 v17, v19, v12, -v17
	v_fma_f16 v18, v20, v14, -v22
	v_fma_f16 v19, v21, v15, -v23
	v_fma_f16 v4, v4, v13, v24
	v_fma_f16 v5, v5, v14, v25
	;; [unrolled: 1-line block ×4, first 2 shown]
	v_sub_f16_e32 v12, v16, v17
	v_sub_f16_e32 v13, v18, v19
	v_add_f16_e32 v15, v17, v19
	v_sub_f16_e32 v21, v4, v3
	v_sub_f16_e32 v22, v5, v10
	v_add_f16_e32 v24, v3, v10
	v_add_f16_e32 v28, v16, v18
	v_add_f16_e32 v31, v4, v5
	v_sub_f16_e32 v14, v4, v5
	v_sub_f16_e32 v20, v3, v10
	;; [unrolled: 1-line block ×6, first 2 shown]
	v_add_f16_e32 v17, v9, v17
	v_add_f16_e32 v3, v2, v3
	v_add_f16_e32 v12, v12, v13
	v_fma_f16 v13, v15, -0.5, v9
	v_add_f16_e32 v15, v21, v22
	v_fma_f16 v21, v24, -0.5, v2
	v_fma_f16 v9, v28, -0.5, v9
	;; [unrolled: 1-line block ×3, first 2 shown]
	v_sub_f16_e32 v25, v16, v18
	v_sub_f16_e32 v30, v10, v5
	v_add_f16_e32 v22, v26, v27
	v_add_f16_e32 v16, v17, v16
	;; [unrolled: 1-line block ×3, first 2 shown]
	v_fma_f16 v4, v14, s3, v13
	v_fma_f16 v13, v14, s18, v13
	;; [unrolled: 1-line block ×4, first 2 shown]
	v_add_f16_e32 v24, v29, v30
	v_fma_f16 v17, v25, s18, v21
	v_fma_f16 v21, v25, s3, v21
	v_add_f16_e32 v16, v16, v18
	v_add_f16_e32 v3, v3, v5
	v_fma_f16 v5, v20, s18, v9
	v_fma_f16 v2, v23, s3, v2
	;; [unrolled: 1-line block ×8, first 2 shown]
	v_add_f16_e32 v16, v16, v19
	v_add_f16_e32 v3, v3, v10
	v_fma_f16 v5, v14, s7, v5
	v_fma_f16 v2, v25, s19, v2
	;; [unrolled: 1-line block ×10, first 2 shown]
	v_pack_b32_f16 v3, v3, v16
	v_pack_b32_f16 v13, v14, v13
	ds_write2_b32 v11, v3, v13 offset1:20
	v_pack_b32_f16 v3, v12, v10
	v_pack_b32_f16 v4, v9, v4
	;; [unrolled: 1-line block ×3, first 2 shown]
	ds_write2_b32 v11, v3, v4 offset0:40 offset1:60
	ds_write_b32 v11, v2 offset:320
.LBB0_6:
	s_or_b64 exec, exec, s[0:1]
	v_mul_lo_u16_e32 v2, 21, v8
	v_lshrrev_b16_e32 v2, 9, v2
	v_mul_lo_u16_e32 v2, 25, v2
	v_sub_u16_e32 v5, v8, v2
	v_mov_b32_e32 v2, 3
	v_mul_u32_u24_sdwa v2, v5, v2 dst_sel:DWORD dst_unused:UNUSED_PAD src0_sel:BYTE_0 src1_sel:DWORD
	v_lshlrev_b32_e32 v2, 2, v2
	s_waitcnt lgkmcnt(0)
	s_barrier
	global_load_dwordx3 v[2:4], v2, s[12:13] offset:80
	s_mul_i32 s3, s11, s16
	s_mul_hi_u32 s7, s10, s16
	v_or_b32_e32 v12, s15, v6
	s_mul_i32 s0, s17, s6
	s_mul_i32 s6, s10, s16
	s_add_i32 s7, s7, s3
	v_mad_u64_u32 v[10:11], s[10:11], s4, v12, 0
	v_sub_u32_e32 v14, v0, v1
	v_mov_b32_e32 v1, 0
	v_mov_b32_e32 v0, v11
	s_lshl_b64 s[6:7], s[6:7], 2
	s_mov_b32 s1, 0
	v_mad_u64_u32 v[12:13], s[4:5], s5, v12, v[0:1]
	s_add_u32 s3, s8, s6
	ds_read2_b32 v[8:9], v7 offset1:100
	v_add_u32_e32 v7, 0x200, v7
	s_addc_u32 s4, s9, s7
	s_lshl_b64 s[0:1], s[0:1], 2
	ds_read2_b32 v[6:7], v7 offset0:72 offset1:172
	s_add_u32 s0, s3, s0
	v_mov_b32_e32 v11, v12
	v_add_u32_sdwa v0, v14, v5 dst_sel:DWORD dst_unused:UNUSED_PAD src0_sel:DWORD src1_sel:BYTE_0
	s_addc_u32 s1, s4, s1
	s_mul_i32 s12, s2, 25
	v_mul_lo_u32 v0, v0, s2
	v_lshl_add_u64 v[10:11], v[10:11], 2, s[0:1]
	v_lshl_add_u64 v[12:13], v[0:1], 2, v[10:11]
	v_add_u32_e32 v0, s12, v0
	v_lshl_add_u64 v[14:15], v[0:1], 2, v[10:11]
	v_add_u32_e32 v0, s12, v0
	s_waitcnt lgkmcnt(1)
	v_lshrrev_b32_e32 v5, 16, v9
	s_waitcnt lgkmcnt(0)
	v_lshrrev_b32_e32 v19, 16, v6
	v_lshrrev_b32_e32 v20, 16, v7
	v_lshl_add_u64 v[16:17], v[0:1], 2, v[10:11]
	v_add_u32_e32 v0, s12, v0
	v_lshl_add_u64 v[0:1], v[0:1], 2, v[10:11]
	v_lshrrev_b32_e32 v18, 16, v8
	s_waitcnt vmcnt(0)
	v_mul_f16_sdwa v10, v2, v5 dst_sel:DWORD dst_unused:UNUSED_PAD src0_sel:WORD_1 src1_sel:DWORD
	v_mul_f16_sdwa v11, v2, v9 dst_sel:DWORD dst_unused:UNUSED_PAD src0_sel:WORD_1 src1_sel:DWORD
	;; [unrolled: 1-line block ×6, first 2 shown]
	v_fma_f16 v9, v2, v9, v10
	v_fma_f16 v2, v2, v5, -v11
	v_fma_f16 v5, v3, v6, v21
	v_fma_f16 v3, v3, v19, -v22
	;; [unrolled: 2-line block ×3, first 2 shown]
	v_sub_f16_e32 v5, v8, v5
	v_sub_f16_e32 v3, v18, v3
	;; [unrolled: 1-line block ×4, first 2 shown]
	v_fma_f16 v7, v8, 2.0, -v5
	v_fma_f16 v8, v18, 2.0, -v3
	v_fma_f16 v9, v9, 2.0, -v6
	v_fma_f16 v2, v2, 2.0, -v4
	v_add_f16_e32 v4, v5, v4
	v_sub_f16_e32 v6, v3, v6
	v_sub_f16_e32 v9, v7, v9
	;; [unrolled: 1-line block ×3, first 2 shown]
	v_fma_f16 v5, v5, 2.0, -v4
	v_fma_f16 v3, v3, 2.0, -v6
	v_pack_b32_f16 v4, v4, v6
	v_fma_f16 v6, v7, 2.0, -v9
	v_fma_f16 v7, v8, 2.0, -v2
	v_pack_b32_f16 v3, v5, v3
	v_pack_b32_f16 v5, v6, v7
	;; [unrolled: 1-line block ×3, first 2 shown]
	global_store_dword v[12:13], v5, off
	global_store_dword v[14:15], v3, off
	;; [unrolled: 1-line block ×4, first 2 shown]
	s_endpgm
	.section	.rodata,"a",@progbits
	.p2align	6, 0x0
	.amdhsa_kernel fft_rtc_back_len100_factors_5_5_4_wgs_100_tpt_25_half_op_CI_CI_sbrc_z_xy_diag_dirReg
		.amdhsa_group_segment_fixed_size 0
		.amdhsa_private_segment_fixed_size 0
		.amdhsa_kernarg_size 104
		.amdhsa_user_sgpr_count 2
		.amdhsa_user_sgpr_dispatch_ptr 0
		.amdhsa_user_sgpr_queue_ptr 0
		.amdhsa_user_sgpr_kernarg_segment_ptr 1
		.amdhsa_user_sgpr_dispatch_id 0
		.amdhsa_user_sgpr_kernarg_preload_length 0
		.amdhsa_user_sgpr_kernarg_preload_offset 0
		.amdhsa_user_sgpr_private_segment_size 0
		.amdhsa_uses_dynamic_stack 0
		.amdhsa_enable_private_segment 0
		.amdhsa_system_sgpr_workgroup_id_x 1
		.amdhsa_system_sgpr_workgroup_id_y 0
		.amdhsa_system_sgpr_workgroup_id_z 0
		.amdhsa_system_sgpr_workgroup_info 0
		.amdhsa_system_vgpr_workitem_id 0
		.amdhsa_next_free_vgpr 32
		.amdhsa_next_free_sgpr 21
		.amdhsa_accum_offset 32
		.amdhsa_reserve_vcc 1
		.amdhsa_float_round_mode_32 0
		.amdhsa_float_round_mode_16_64 0
		.amdhsa_float_denorm_mode_32 3
		.amdhsa_float_denorm_mode_16_64 3
		.amdhsa_dx10_clamp 1
		.amdhsa_ieee_mode 1
		.amdhsa_fp16_overflow 0
		.amdhsa_tg_split 0
		.amdhsa_exception_fp_ieee_invalid_op 0
		.amdhsa_exception_fp_denorm_src 0
		.amdhsa_exception_fp_ieee_div_zero 0
		.amdhsa_exception_fp_ieee_overflow 0
		.amdhsa_exception_fp_ieee_underflow 0
		.amdhsa_exception_fp_ieee_inexact 0
		.amdhsa_exception_int_div_zero 0
	.end_amdhsa_kernel
	.text
.Lfunc_end0:
	.size	fft_rtc_back_len100_factors_5_5_4_wgs_100_tpt_25_half_op_CI_CI_sbrc_z_xy_diag_dirReg, .Lfunc_end0-fft_rtc_back_len100_factors_5_5_4_wgs_100_tpt_25_half_op_CI_CI_sbrc_z_xy_diag_dirReg
                                        ; -- End function
	.section	.AMDGPU.csdata,"",@progbits
; Kernel info:
; codeLenInByte = 2200
; NumSgprs: 27
; NumVgprs: 32
; NumAgprs: 0
; TotalNumVgprs: 32
; ScratchSize: 0
; MemoryBound: 0
; FloatMode: 240
; IeeeMode: 1
; LDSByteSize: 0 bytes/workgroup (compile time only)
; SGPRBlocks: 3
; VGPRBlocks: 3
; NumSGPRsForWavesPerEU: 27
; NumVGPRsForWavesPerEU: 32
; AccumOffset: 32
; Occupancy: 8
; WaveLimiterHint : 1
; COMPUTE_PGM_RSRC2:SCRATCH_EN: 0
; COMPUTE_PGM_RSRC2:USER_SGPR: 2
; COMPUTE_PGM_RSRC2:TRAP_HANDLER: 0
; COMPUTE_PGM_RSRC2:TGID_X_EN: 1
; COMPUTE_PGM_RSRC2:TGID_Y_EN: 0
; COMPUTE_PGM_RSRC2:TGID_Z_EN: 0
; COMPUTE_PGM_RSRC2:TIDIG_COMP_CNT: 0
; COMPUTE_PGM_RSRC3_GFX90A:ACCUM_OFFSET: 7
; COMPUTE_PGM_RSRC3_GFX90A:TG_SPLIT: 0
	.text
	.p2alignl 6, 3212836864
	.fill 256, 4, 3212836864
	.type	__hip_cuid_d19e0fe9e603bca4,@object ; @__hip_cuid_d19e0fe9e603bca4
	.section	.bss,"aw",@nobits
	.globl	__hip_cuid_d19e0fe9e603bca4
__hip_cuid_d19e0fe9e603bca4:
	.byte	0                               ; 0x0
	.size	__hip_cuid_d19e0fe9e603bca4, 1

	.ident	"AMD clang version 19.0.0git (https://github.com/RadeonOpenCompute/llvm-project roc-6.4.0 25133 c7fe45cf4b819c5991fe208aaa96edf142730f1d)"
	.section	".note.GNU-stack","",@progbits
	.addrsig
	.addrsig_sym __hip_cuid_d19e0fe9e603bca4
	.amdgpu_metadata
---
amdhsa.kernels:
  - .agpr_count:     0
    .args:
      - .actual_access:  read_only
        .address_space:  global
        .offset:         0
        .size:           8
        .value_kind:     global_buffer
      - .offset:         8
        .size:           8
        .value_kind:     by_value
      - .actual_access:  read_only
        .address_space:  global
        .offset:         16
        .size:           8
        .value_kind:     global_buffer
      - .actual_access:  read_only
        .address_space:  global
        .offset:         24
        .size:           8
        .value_kind:     global_buffer
      - .actual_access:  read_only
        .address_space:  global
        .offset:         32
        .size:           8
        .value_kind:     global_buffer
      - .offset:         40
        .size:           8
        .value_kind:     by_value
      - .actual_access:  read_only
        .address_space:  global
        .offset:         48
        .size:           8
        .value_kind:     global_buffer
      - .actual_access:  read_only
        .address_space:  global
        .offset:         56
        .size:           8
        .value_kind:     global_buffer
      - .offset:         64
        .size:           4
        .value_kind:     by_value
      - .actual_access:  read_only
        .address_space:  global
        .offset:         72
        .size:           8
        .value_kind:     global_buffer
      - .actual_access:  read_only
        .address_space:  global
        .offset:         80
        .size:           8
        .value_kind:     global_buffer
      - .actual_access:  read_only
        .address_space:  global
        .offset:         88
        .size:           8
        .value_kind:     global_buffer
      - .actual_access:  write_only
        .address_space:  global
        .offset:         96
        .size:           8
        .value_kind:     global_buffer
    .group_segment_fixed_size: 0
    .kernarg_segment_align: 8
    .kernarg_segment_size: 104
    .language:       OpenCL C
    .language_version:
      - 2
      - 0
    .max_flat_workgroup_size: 100
    .name:           fft_rtc_back_len100_factors_5_5_4_wgs_100_tpt_25_half_op_CI_CI_sbrc_z_xy_diag_dirReg
    .private_segment_fixed_size: 0
    .sgpr_count:     27
    .sgpr_spill_count: 0
    .symbol:         fft_rtc_back_len100_factors_5_5_4_wgs_100_tpt_25_half_op_CI_CI_sbrc_z_xy_diag_dirReg.kd
    .uniform_work_group_size: 1
    .uses_dynamic_stack: false
    .vgpr_count:     32
    .vgpr_spill_count: 0
    .wavefront_size: 64
amdhsa.target:   amdgcn-amd-amdhsa--gfx950
amdhsa.version:
  - 1
  - 2
...

	.end_amdgpu_metadata
